;; amdgpu-corpus repo=llvm/llvm-project kind=harvested arch=n/a opt=n/a
// NOTE: Assertions have been autogenerated by utils/update_mc_test_checks.py UTC_ARGS: --unique --sort --version 6
// RUN: not llvm-mc -triple=amdgcn %s -filetype=null 2>&1 | FileCheck -check-prefix=GCN --implicit-check-not=error: %s

s_and_b32 s2, 0x12345678, 0x12345679
// GCN: :[[@LINE-1]]:27: error: only one unique literal operand is allowed

s_and_b64 s[2:3], 0x12345678, 0x12345679
// GCN: :[[@LINE-1]]:31: error: only one unique literal operand is allowed

s_cbranch_g_fork 100, s[6:7]
// GCN: :[[@LINE-1]]:18: error: invalid operand for instruction

s_cbranch_g_fork s[6:7], 100
// GCN: :[[@LINE-1]]:26: error: invalid operand for instruction
